;; amdgpu-corpus repo=ROCm/rocFFT kind=compiled arch=gfx1201 opt=O3
	.text
	.amdgcn_target "amdgcn-amd-amdhsa--gfx1201"
	.amdhsa_code_object_version 6
	.protected	fft_rtc_back_len168_factors_8_7_3_wgs_224_tpt_56_sp_ip_CI_unitstride_sbrr_R2C_dirReg ; -- Begin function fft_rtc_back_len168_factors_8_7_3_wgs_224_tpt_56_sp_ip_CI_unitstride_sbrr_R2C_dirReg
	.globl	fft_rtc_back_len168_factors_8_7_3_wgs_224_tpt_56_sp_ip_CI_unitstride_sbrr_R2C_dirReg
	.p2align	8
	.type	fft_rtc_back_len168_factors_8_7_3_wgs_224_tpt_56_sp_ip_CI_unitstride_sbrr_R2C_dirReg,@function
fft_rtc_back_len168_factors_8_7_3_wgs_224_tpt_56_sp_ip_CI_unitstride_sbrr_R2C_dirReg: ; @fft_rtc_back_len168_factors_8_7_3_wgs_224_tpt_56_sp_ip_CI_unitstride_sbrr_R2C_dirReg
; %bb.0:
	s_clause 0x2
	s_load_b128 s[4:7], s[0:1], 0x0
	s_load_b64 s[8:9], s[0:1], 0x50
	s_load_b64 s[10:11], s[0:1], 0x18
	v_mul_u32_u24_e32 v1, 0x493, v0
	v_mov_b32_e32 v3, 0
	s_delay_alu instid0(VALU_DEP_2) | instskip(SKIP_2) | instid1(VALU_DEP_4)
	v_lshrrev_b32_e32 v9, 16, v1
	v_mov_b32_e32 v1, 0
	v_mov_b32_e32 v2, 0
	;; [unrolled: 1-line block ×3, first 2 shown]
	s_delay_alu instid0(VALU_DEP_4) | instskip(SKIP_2) | instid1(VALU_DEP_1)
	v_lshl_add_u32 v5, ttmp9, 2, v9
	s_wait_kmcnt 0x0
	v_cmp_lt_u64_e64 s2, s[6:7], 2
	s_and_b32 vcc_lo, exec_lo, s2
	s_cbranch_vccnz .LBB0_8
; %bb.1:
	s_load_b64 s[2:3], s[0:1], 0x10
	v_mov_b32_e32 v1, 0
	v_mov_b32_e32 v2, 0
	s_add_nc_u64 s[12:13], s[10:11], 8
	s_mov_b64 s[14:15], 1
	s_wait_kmcnt 0x0
	s_add_nc_u64 s[16:17], s[2:3], 8
	s_mov_b32 s3, 0
.LBB0_2:                                ; =>This Inner Loop Header: Depth=1
	s_load_b64 s[18:19], s[16:17], 0x0
                                        ; implicit-def: $vgpr7_vgpr8
	s_mov_b32 s2, exec_lo
	s_wait_kmcnt 0x0
	v_or_b32_e32 v4, s19, v6
	s_delay_alu instid0(VALU_DEP_1)
	v_cmpx_ne_u64_e32 0, v[3:4]
	s_wait_alu 0xfffe
	s_xor_b32 s20, exec_lo, s2
	s_cbranch_execz .LBB0_4
; %bb.3:                                ;   in Loop: Header=BB0_2 Depth=1
	s_cvt_f32_u32 s2, s18
	s_cvt_f32_u32 s21, s19
	s_sub_nc_u64 s[24:25], 0, s[18:19]
	s_wait_alu 0xfffe
	s_delay_alu instid0(SALU_CYCLE_1) | instskip(SKIP_1) | instid1(SALU_CYCLE_2)
	s_fmamk_f32 s2, s21, 0x4f800000, s2
	s_wait_alu 0xfffe
	v_s_rcp_f32 s2, s2
	s_delay_alu instid0(TRANS32_DEP_1) | instskip(SKIP_1) | instid1(SALU_CYCLE_2)
	s_mul_f32 s2, s2, 0x5f7ffffc
	s_wait_alu 0xfffe
	s_mul_f32 s21, s2, 0x2f800000
	s_wait_alu 0xfffe
	s_delay_alu instid0(SALU_CYCLE_2) | instskip(SKIP_1) | instid1(SALU_CYCLE_2)
	s_trunc_f32 s21, s21
	s_wait_alu 0xfffe
	s_fmamk_f32 s2, s21, 0xcf800000, s2
	s_cvt_u32_f32 s23, s21
	s_wait_alu 0xfffe
	s_delay_alu instid0(SALU_CYCLE_1) | instskip(SKIP_1) | instid1(SALU_CYCLE_2)
	s_cvt_u32_f32 s22, s2
	s_wait_alu 0xfffe
	s_mul_u64 s[26:27], s[24:25], s[22:23]
	s_wait_alu 0xfffe
	s_mul_hi_u32 s29, s22, s27
	s_mul_i32 s28, s22, s27
	s_mul_hi_u32 s2, s22, s26
	s_mul_i32 s30, s23, s26
	s_wait_alu 0xfffe
	s_add_nc_u64 s[28:29], s[2:3], s[28:29]
	s_mul_hi_u32 s21, s23, s26
	s_mul_hi_u32 s31, s23, s27
	s_add_co_u32 s2, s28, s30
	s_wait_alu 0xfffe
	s_add_co_ci_u32 s2, s29, s21
	s_mul_i32 s26, s23, s27
	s_add_co_ci_u32 s27, s31, 0
	s_wait_alu 0xfffe
	s_add_nc_u64 s[26:27], s[2:3], s[26:27]
	s_wait_alu 0xfffe
	v_add_co_u32 v4, s2, s22, s26
	s_delay_alu instid0(VALU_DEP_1) | instskip(SKIP_1) | instid1(VALU_DEP_1)
	s_cmp_lg_u32 s2, 0
	s_add_co_ci_u32 s23, s23, s27
	v_readfirstlane_b32 s22, v4
	s_wait_alu 0xfffe
	s_delay_alu instid0(VALU_DEP_1)
	s_mul_u64 s[24:25], s[24:25], s[22:23]
	s_wait_alu 0xfffe
	s_mul_hi_u32 s27, s22, s25
	s_mul_i32 s26, s22, s25
	s_mul_hi_u32 s2, s22, s24
	s_mul_i32 s28, s23, s24
	s_wait_alu 0xfffe
	s_add_nc_u64 s[26:27], s[2:3], s[26:27]
	s_mul_hi_u32 s21, s23, s24
	s_mul_hi_u32 s22, s23, s25
	s_wait_alu 0xfffe
	s_add_co_u32 s2, s26, s28
	s_add_co_ci_u32 s2, s27, s21
	s_mul_i32 s24, s23, s25
	s_add_co_ci_u32 s25, s22, 0
	s_wait_alu 0xfffe
	s_add_nc_u64 s[24:25], s[2:3], s[24:25]
	s_wait_alu 0xfffe
	v_add_co_u32 v4, s2, v4, s24
	s_delay_alu instid0(VALU_DEP_1) | instskip(SKIP_1) | instid1(VALU_DEP_1)
	s_cmp_lg_u32 s2, 0
	s_add_co_ci_u32 s2, s23, s25
	v_mul_hi_u32 v14, v5, v4
	s_wait_alu 0xfffe
	v_mad_co_u64_u32 v[7:8], null, v5, s2, 0
	v_mad_co_u64_u32 v[10:11], null, v6, v4, 0
	;; [unrolled: 1-line block ×3, first 2 shown]
	s_delay_alu instid0(VALU_DEP_3) | instskip(SKIP_1) | instid1(VALU_DEP_4)
	v_add_co_u32 v4, vcc_lo, v14, v7
	s_wait_alu 0xfffd
	v_add_co_ci_u32_e32 v7, vcc_lo, 0, v8, vcc_lo
	s_delay_alu instid0(VALU_DEP_2) | instskip(SKIP_1) | instid1(VALU_DEP_2)
	v_add_co_u32 v4, vcc_lo, v4, v10
	s_wait_alu 0xfffd
	v_add_co_ci_u32_e32 v4, vcc_lo, v7, v11, vcc_lo
	s_wait_alu 0xfffd
	v_add_co_ci_u32_e32 v7, vcc_lo, 0, v13, vcc_lo
	s_delay_alu instid0(VALU_DEP_2) | instskip(SKIP_1) | instid1(VALU_DEP_2)
	v_add_co_u32 v4, vcc_lo, v4, v12
	s_wait_alu 0xfffd
	v_add_co_ci_u32_e32 v10, vcc_lo, 0, v7, vcc_lo
	s_delay_alu instid0(VALU_DEP_2) | instskip(SKIP_1) | instid1(VALU_DEP_3)
	v_mul_lo_u32 v11, s19, v4
	v_mad_co_u64_u32 v[7:8], null, s18, v4, 0
	v_mul_lo_u32 v12, s18, v10
	s_delay_alu instid0(VALU_DEP_2) | instskip(NEXT) | instid1(VALU_DEP_2)
	v_sub_co_u32 v7, vcc_lo, v5, v7
	v_add3_u32 v8, v8, v12, v11
	s_delay_alu instid0(VALU_DEP_1) | instskip(SKIP_1) | instid1(VALU_DEP_1)
	v_sub_nc_u32_e32 v11, v6, v8
	s_wait_alu 0xfffd
	v_subrev_co_ci_u32_e64 v11, s2, s19, v11, vcc_lo
	v_add_co_u32 v12, s2, v4, 2
	s_wait_alu 0xf1ff
	v_add_co_ci_u32_e64 v13, s2, 0, v10, s2
	v_sub_co_u32 v14, s2, v7, s18
	v_sub_co_ci_u32_e32 v8, vcc_lo, v6, v8, vcc_lo
	s_wait_alu 0xf1ff
	v_subrev_co_ci_u32_e64 v11, s2, 0, v11, s2
	s_delay_alu instid0(VALU_DEP_3) | instskip(NEXT) | instid1(VALU_DEP_3)
	v_cmp_le_u32_e32 vcc_lo, s18, v14
	v_cmp_eq_u32_e64 s2, s19, v8
	s_wait_alu 0xfffd
	v_cndmask_b32_e64 v14, 0, -1, vcc_lo
	v_cmp_le_u32_e32 vcc_lo, s19, v11
	s_wait_alu 0xfffd
	v_cndmask_b32_e64 v15, 0, -1, vcc_lo
	v_cmp_le_u32_e32 vcc_lo, s18, v7
	;; [unrolled: 3-line block ×3, first 2 shown]
	s_wait_alu 0xfffd
	v_cndmask_b32_e64 v16, 0, -1, vcc_lo
	v_cmp_eq_u32_e32 vcc_lo, s19, v11
	s_wait_alu 0xf1ff
	s_delay_alu instid0(VALU_DEP_2)
	v_cndmask_b32_e64 v7, v16, v7, s2
	s_wait_alu 0xfffd
	v_cndmask_b32_e32 v11, v15, v14, vcc_lo
	v_add_co_u32 v14, vcc_lo, v4, 1
	s_wait_alu 0xfffd
	v_add_co_ci_u32_e32 v15, vcc_lo, 0, v10, vcc_lo
	s_delay_alu instid0(VALU_DEP_3) | instskip(SKIP_1) | instid1(VALU_DEP_2)
	v_cmp_ne_u32_e32 vcc_lo, 0, v11
	s_wait_alu 0xfffd
	v_dual_cndmask_b32 v8, v15, v13 :: v_dual_cndmask_b32 v11, v14, v12
	v_cmp_ne_u32_e32 vcc_lo, 0, v7
	s_wait_alu 0xfffd
	s_delay_alu instid0(VALU_DEP_2)
	v_dual_cndmask_b32 v8, v10, v8 :: v_dual_cndmask_b32 v7, v4, v11
.LBB0_4:                                ;   in Loop: Header=BB0_2 Depth=1
	s_wait_alu 0xfffe
	s_and_not1_saveexec_b32 s2, s20
	s_cbranch_execz .LBB0_6
; %bb.5:                                ;   in Loop: Header=BB0_2 Depth=1
	v_cvt_f32_u32_e32 v4, s18
	s_sub_co_i32 s20, 0, s18
	s_delay_alu instid0(VALU_DEP_1) | instskip(NEXT) | instid1(TRANS32_DEP_1)
	v_rcp_iflag_f32_e32 v4, v4
	v_mul_f32_e32 v4, 0x4f7ffffe, v4
	s_delay_alu instid0(VALU_DEP_1) | instskip(SKIP_1) | instid1(VALU_DEP_1)
	v_cvt_u32_f32_e32 v4, v4
	s_wait_alu 0xfffe
	v_mul_lo_u32 v7, s20, v4
	s_delay_alu instid0(VALU_DEP_1) | instskip(NEXT) | instid1(VALU_DEP_1)
	v_mul_hi_u32 v7, v4, v7
	v_add_nc_u32_e32 v4, v4, v7
	s_delay_alu instid0(VALU_DEP_1) | instskip(NEXT) | instid1(VALU_DEP_1)
	v_mul_hi_u32 v4, v5, v4
	v_mul_lo_u32 v7, v4, s18
	v_add_nc_u32_e32 v8, 1, v4
	s_delay_alu instid0(VALU_DEP_2) | instskip(NEXT) | instid1(VALU_DEP_1)
	v_sub_nc_u32_e32 v7, v5, v7
	v_subrev_nc_u32_e32 v10, s18, v7
	v_cmp_le_u32_e32 vcc_lo, s18, v7
	s_wait_alu 0xfffd
	s_delay_alu instid0(VALU_DEP_2) | instskip(NEXT) | instid1(VALU_DEP_1)
	v_dual_cndmask_b32 v7, v7, v10 :: v_dual_cndmask_b32 v4, v4, v8
	v_cmp_le_u32_e32 vcc_lo, s18, v7
	s_delay_alu instid0(VALU_DEP_2) | instskip(SKIP_1) | instid1(VALU_DEP_1)
	v_add_nc_u32_e32 v8, 1, v4
	s_wait_alu 0xfffd
	v_dual_cndmask_b32 v7, v4, v8 :: v_dual_mov_b32 v8, v3
.LBB0_6:                                ;   in Loop: Header=BB0_2 Depth=1
	s_wait_alu 0xfffe
	s_or_b32 exec_lo, exec_lo, s2
	s_load_b64 s[20:21], s[12:13], 0x0
	s_delay_alu instid0(VALU_DEP_1)
	v_mul_lo_u32 v4, v8, s18
	v_mul_lo_u32 v12, v7, s19
	v_mad_co_u64_u32 v[10:11], null, v7, s18, 0
	s_add_nc_u64 s[14:15], s[14:15], 1
	s_add_nc_u64 s[12:13], s[12:13], 8
	s_wait_alu 0xfffe
	v_cmp_ge_u64_e64 s2, s[14:15], s[6:7]
	s_add_nc_u64 s[16:17], s[16:17], 8
	s_delay_alu instid0(VALU_DEP_2) | instskip(NEXT) | instid1(VALU_DEP_3)
	v_add3_u32 v4, v11, v12, v4
	v_sub_co_u32 v5, vcc_lo, v5, v10
	s_wait_alu 0xfffd
	s_delay_alu instid0(VALU_DEP_2) | instskip(SKIP_3) | instid1(VALU_DEP_2)
	v_sub_co_ci_u32_e32 v4, vcc_lo, v6, v4, vcc_lo
	s_and_b32 vcc_lo, exec_lo, s2
	s_wait_kmcnt 0x0
	v_mul_lo_u32 v6, s21, v5
	v_mul_lo_u32 v4, s20, v4
	v_mad_co_u64_u32 v[1:2], null, s20, v5, v[1:2]
	s_delay_alu instid0(VALU_DEP_1)
	v_add3_u32 v2, v6, v2, v4
	s_wait_alu 0xfffe
	s_cbranch_vccnz .LBB0_9
; %bb.7:                                ;   in Loop: Header=BB0_2 Depth=1
	v_dual_mov_b32 v5, v7 :: v_dual_mov_b32 v6, v8
	s_branch .LBB0_2
.LBB0_8:
	v_dual_mov_b32 v8, v6 :: v_dual_mov_b32 v7, v5
.LBB0_9:
	s_lshl_b64 s[2:3], s[6:7], 3
	v_mul_hi_u32 v3, 0x4924925, v0
	s_wait_alu 0xfffe
	s_add_nc_u64 s[2:3], s[10:11], s[2:3]
	v_and_b32_e32 v6, 3, v9
	s_load_b64 s[2:3], s[2:3], 0x0
	s_load_b64 s[0:1], s[0:1], 0x20
	s_delay_alu instid0(VALU_DEP_2) | instskip(NEXT) | instid1(VALU_DEP_1)
	v_mul_u32_u24_e32 v3, 56, v3
	v_sub_nc_u32_e32 v0, v0, v3
	s_delay_alu instid0(VALU_DEP_1)
	v_lshlrev_b32_e32 v21, 3, v0
	s_wait_kmcnt 0x0
	v_mul_lo_u32 v4, s2, v8
	v_mul_lo_u32 v5, s3, v7
	v_mad_co_u64_u32 v[1:2], null, s2, v7, v[1:2]
	v_cmp_gt_u64_e32 vcc_lo, s[0:1], v[7:8]
	s_delay_alu instid0(VALU_DEP_2) | instskip(SKIP_1) | instid1(VALU_DEP_2)
	v_add3_u32 v2, v5, v2, v4
	v_mul_u32_u24_e32 v4, 0xa9, v6
	v_lshlrev_b64_e32 v[2:3], 3, v[1:2]
	s_delay_alu instid0(VALU_DEP_2)
	v_lshlrev_b32_e32 v23, 3, v4
	s_and_saveexec_b32 s1, vcc_lo
	s_cbranch_execz .LBB0_11
; %bb.10:
	v_mov_b32_e32 v1, 0
	s_delay_alu instid0(VALU_DEP_1) | instskip(SKIP_3) | instid1(VALU_DEP_2)
	v_lshlrev_b64_e32 v[4:5], 3, v[0:1]
	v_add_co_u32 v1, s0, s8, v2
	s_wait_alu 0xf1ff
	v_add_co_ci_u32_e64 v6, s0, s9, v3, s0
	v_add_co_u32 v4, s0, v1, v4
	s_wait_alu 0xf1ff
	s_delay_alu instid0(VALU_DEP_2)
	v_add_co_ci_u32_e64 v5, s0, v6, v5, s0
	v_add3_u32 v1, 0, v23, v21
	s_clause 0x2
	global_load_b64 v[6:7], v[4:5], off
	global_load_b64 v[8:9], v[4:5], off offset:448
	global_load_b64 v[4:5], v[4:5], off offset:896
	s_wait_loadcnt 0x1
	ds_store_2addr_b64 v1, v[6:7], v[8:9] offset1:56
	s_wait_loadcnt 0x0
	ds_store_b64 v1, v[4:5] offset:896
.LBB0_11:
	s_wait_alu 0xfffe
	s_or_b32 exec_lo, exec_lo, s1
	v_add_nc_u32_e32 v24, 0, v21
	v_add_nc_u32_e32 v1, 0, v23
	global_wb scope:SCOPE_SE
	s_wait_dscnt 0x0
	s_barrier_signal -1
	s_barrier_wait -1
	v_add_nc_u32_e32 v22, v24, v23
	v_add_nc_u32_e32 v20, v1, v21
	global_inv scope:SCOPE_SE
	s_mov_b32 s1, exec_lo
	ds_load_2addr_b64 v[4:7], v22 offset0:63 offset1:84
	ds_load_b64 v[16:17], v20
	ds_load_2addr_b64 v[8:11], v22 offset0:21 offset1:42
	ds_load_2addr_b64 v[12:15], v22 offset0:105 offset1:126
	ds_load_b64 v[18:19], v22 offset:1176
	global_wb scope:SCOPE_SE
	s_wait_dscnt 0x0
	s_barrier_signal -1
	s_barrier_wait -1
	global_inv scope:SCOPE_SE
	v_dual_sub_f32 v6, v16, v6 :: v_dual_sub_f32 v7, v17, v7
	v_dual_sub_f32 v15, v11, v15 :: v_dual_sub_f32 v14, v10, v14
	;; [unrolled: 1-line block ×3, first 2 shown]
	v_sub_f32_e32 v13, v9, v13
	s_delay_alu instid0(VALU_DEP_3) | instskip(NEXT) | instid1(VALU_DEP_4)
	v_add_f32_e32 v25, v6, v15
	v_fma_f32 v10, v10, 2.0, -v14
	v_fma_f32 v11, v11, 2.0, -v15
	;; [unrolled: 1-line block ×3, first 2 shown]
	v_sub_f32_e32 v26, v7, v14
	v_fma_f32 v9, v9, 2.0, -v13
	v_fma_f32 v5, v5, 2.0, -v19
	;; [unrolled: 1-line block ×5, first 2 shown]
	v_sub_f32_e32 v18, v4, v18
	v_add_f32_e32 v14, v12, v19
	s_delay_alu instid0(VALU_DEP_4) | instskip(SKIP_1) | instid1(VALU_DEP_4)
	v_dual_sub_f32 v27, v16, v10 :: v_dual_sub_f32 v28, v17, v11
	v_fma_f32 v10, v6, 2.0, -v25
	v_sub_f32_e32 v15, v13, v18
	v_sub_f32_e32 v30, v9, v5
	s_delay_alu instid0(VALU_DEP_2) | instskip(SKIP_1) | instid1(VALU_DEP_2)
	v_fma_f32 v5, v13, 2.0, -v15
	v_fma_f32 v13, v17, 2.0, -v28
	v_fmamk_f32 v7, v5, 0xbf3504f3, v29
	v_fma_f32 v4, v4, 2.0, -v18
	s_delay_alu instid0(VALU_DEP_1)
	v_sub_f32_e32 v11, v8, v4
	v_fmamk_f32 v19, v15, 0x3f3504f3, v26
	v_fma_f32 v4, v12, 2.0, -v14
	v_fma_f32 v12, v16, 2.0, -v27
	v_fma_f32 v9, v9, 2.0, -v30
	v_fma_f32 v8, v8, 2.0, -v11
	v_dual_fmamk_f32 v18, v14, 0x3f3504f3, v25 :: v_dual_sub_f32 v11, v28, v11
	s_delay_alu instid0(VALU_DEP_3) | instskip(NEXT) | instid1(VALU_DEP_3)
	v_dual_fmamk_f32 v6, v4, 0xbf3504f3, v10 :: v_dual_sub_f32 v9, v13, v9
	v_dual_sub_f32 v8, v12, v8 :: v_dual_fmac_f32 v19, 0xbf3504f3, v14
	v_fmac_f32_e32 v7, 0xbf3504f3, v4
	s_delay_alu instid0(VALU_DEP_3) | instskip(SKIP_1) | instid1(VALU_DEP_4)
	v_fmac_f32_e32 v6, 0x3f3504f3, v5
	v_fmac_f32_e32 v18, 0x3f3504f3, v15
	v_fma_f32 v4, v12, 2.0, -v8
	v_fma_f32 v5, v13, 2.0, -v9
	;; [unrolled: 1-line block ×4, first 2 shown]
	v_add_f32_e32 v10, v27, v30
	v_fma_f32 v13, v29, 2.0, -v7
	v_fma_f32 v16, v25, 2.0, -v18
	;; [unrolled: 1-line block ×3, first 2 shown]
	s_delay_alu instid0(VALU_DEP_4)
	v_fma_f32 v14, v27, 2.0, -v10
	v_cmpx_gt_u32_e32 21, v0
	s_cbranch_execz .LBB0_13
; %bb.12:
	v_mul_u32_u24_e32 v25, 56, v0
	s_delay_alu instid0(VALU_DEP_1)
	v_add3_u32 v24, v24, v25, v23
	ds_store_2addr_b64 v24, v[4:5], v[12:13] offset1:1
	ds_store_2addr_b64 v24, v[14:15], v[16:17] offset0:2 offset1:3
	ds_store_2addr_b64 v24, v[8:9], v[6:7] offset0:4 offset1:5
	;; [unrolled: 1-line block ×3, first 2 shown]
.LBB0_13:
	s_wait_alu 0xfffe
	s_or_b32 exec_lo, exec_lo, s1
	v_cmp_gt_u32_e64 s0, 24, v0
	global_wb scope:SCOPE_SE
	s_wait_dscnt 0x0
	s_barrier_signal -1
	s_barrier_wait -1
	global_inv scope:SCOPE_SE
	s_and_saveexec_b32 s1, s0
	s_cbranch_execz .LBB0_15
; %bb.14:
	ds_load_2addr_b64 v[6:9], v22 offset0:120 offset1:144
	ds_load_2addr_b64 v[12:15], v22 offset0:72 offset1:96
	;; [unrolled: 1-line block ×3, first 2 shown]
	ds_load_b64 v[4:5], v20
	s_wait_dscnt 0x3
	v_dual_mov_b32 v11, v9 :: v_dual_mov_b32 v10, v8
	s_wait_dscnt 0x2
	v_dual_mov_b32 v9, v15 :: v_dual_mov_b32 v8, v14
	v_dual_mov_b32 v17, v13 :: v_dual_mov_b32 v16, v12
	s_wait_dscnt 0x1
	v_dual_mov_b32 v15, v27 :: v_dual_mov_b32 v14, v26
	v_dual_mov_b32 v13, v25 :: v_dual_mov_b32 v12, v24
.LBB0_15:
	s_wait_alu 0xfffe
	s_or_b32 exec_lo, exec_lo, s1
	global_wb scope:SCOPE_SE
	s_wait_dscnt 0x0
	s_barrier_signal -1
	s_barrier_wait -1
	global_inv scope:SCOPE_SE
	s_and_saveexec_b32 s1, s0
	s_cbranch_execz .LBB0_17
; %bb.16:
	v_and_b32_e32 v18, 7, v0
	s_delay_alu instid0(VALU_DEP_1) | instskip(NEXT) | instid1(VALU_DEP_1)
	v_mul_u32_u24_e32 v19, 6, v18
	v_lshlrev_b32_e32 v19, 3, v19
	s_clause 0x2
	global_load_b128 v[24:27], v19, s[4:5]
	global_load_b128 v[28:31], v19, s[4:5] offset:32
	global_load_b128 v[32:35], v19, s[4:5] offset:16
	v_lshrrev_b32_e32 v19, 3, v0
	s_delay_alu instid0(VALU_DEP_1) | instskip(NEXT) | instid1(VALU_DEP_1)
	v_mul_u32_u24_e32 v19, 56, v19
	v_or_b32_e32 v18, v19, v18
	s_delay_alu instid0(VALU_DEP_1) | instskip(NEXT) | instid1(VALU_DEP_1)
	v_lshlrev_b32_e32 v18, 3, v18
	v_add3_u32 v18, 0, v18, v23
	s_wait_loadcnt 0x2
	v_mul_f32_e32 v19, v13, v25
	s_wait_loadcnt 0x1
	v_mul_f32_e32 v23, v11, v31
	s_wait_loadcnt 0x0
	v_dual_mul_f32 v36, v9, v35 :: v_dual_mul_f32 v39, v7, v29
	v_dual_mul_f32 v37, v17, v33 :: v_dual_mul_f32 v38, v15, v27
	v_mul_f32_e32 v25, v12, v25
	s_delay_alu instid0(VALU_DEP_3) | instskip(NEXT) | instid1(VALU_DEP_3)
	v_dual_fmac_f32 v36, v8, v34 :: v_dual_fmac_f32 v39, v6, v28
	v_dual_mul_f32 v35, v8, v35 :: v_dual_fmac_f32 v38, v14, v26
	s_delay_alu instid0(VALU_DEP_4)
	v_fmac_f32_e32 v37, v16, v32
	v_fmac_f32_e32 v19, v12, v24
	v_fmac_f32_e32 v23, v10, v30
	v_fma_f32 v8, v13, v24, -v25
	v_mul_f32_e32 v31, v10, v31
	v_dual_add_f32 v24, v38, v39 :: v_dual_sub_f32 v13, v36, v37
	v_mul_f32_e32 v27, v14, v27
	v_dual_sub_f32 v14, v38, v39 :: v_dual_mul_f32 v33, v16, v33
	v_sub_f32_e32 v12, v19, v23
	v_fma_f32 v9, v9, v34, -v35
	s_delay_alu instid0(VALU_DEP_3) | instskip(SKIP_3) | instid1(VALU_DEP_2)
	v_fma_f32 v10, v17, v32, -v33
	v_mul_f32_e32 v29, v6, v29
	v_fma_f32 v6, v11, v30, -v31
	v_fma_f32 v11, v15, v26, -v27
	v_dual_add_f32 v16, v10, v9 :: v_dual_add_f32 v15, v8, v6
	v_sub_f32_e32 v6, v8, v6
	v_sub_f32_e32 v8, v9, v10
	v_fma_f32 v7, v7, v28, -v29
	s_delay_alu instid0(VALU_DEP_1) | instskip(NEXT) | instid1(VALU_DEP_1)
	v_dual_sub_f32 v30, v6, v8 :: v_dual_add_f32 v17, v11, v7
	v_add_f32_e32 v26, v17, v15
	v_add_f32_e32 v19, v19, v23
	v_add_f32_e32 v23, v37, v36
	v_sub_f32_e32 v7, v11, v7
	s_delay_alu instid0(VALU_DEP_2)
	v_dual_sub_f32 v28, v23, v24 :: v_dual_sub_f32 v9, v12, v13
	v_sub_f32_e32 v10, v13, v14
	v_add_f32_e32 v11, v13, v14
	v_sub_f32_e32 v13, v15, v16
	v_dual_sub_f32 v14, v14, v12 :: v_dual_sub_f32 v25, v16, v17
	v_add_f32_e32 v16, v16, v26
	v_sub_f32_e32 v31, v8, v7
	v_dual_add_f32 v8, v8, v7 :: v_dual_sub_f32 v7, v7, v6
	v_dual_mul_f32 v10, 0x3f08b237, v10 :: v_dual_add_f32 v29, v24, v19
	s_delay_alu instid0(VALU_DEP_3) | instskip(NEXT) | instid1(VALU_DEP_3)
	v_dual_mul_f32 v26, 0x3f08b237, v31 :: v_dual_add_f32 v11, v11, v12
	v_add_f32_e32 v6, v8, v6
	v_mul_f32_e32 v12, 0x3f4a47b2, v13
	v_mul_f32_e32 v8, 0xbf5ff5aa, v14
	s_delay_alu instid0(VALU_DEP_4) | instskip(SKIP_3) | instid1(VALU_DEP_4)
	v_fmamk_f32 v31, v30, 0xbeae86e6, v26
	v_sub_f32_e32 v27, v19, v23
	v_sub_f32_e32 v15, v17, v15
	v_mul_f32_e32 v13, 0x3d64c772, v25
	v_fmac_f32_e32 v31, 0xbee1c552, v6
	v_fmamk_f32 v25, v25, 0x3d64c772, v12
	v_dual_sub_f32 v17, v24, v19 :: v_dual_mul_f32 v24, 0x3d64c772, v28
	v_fma_f32 v32, 0x3eae86e6, v9, -v8
	v_add_f32_e32 v23, v23, v29
	v_fmamk_f32 v29, v9, 0xbeae86e6, v10
	v_fma_f32 v10, 0xbf5ff5aa, v14, -v10
	v_add_f32_e32 v5, v5, v16
	v_fma_f32 v8, 0xbf3bfb3b, v15, -v12
	v_add_f32_e32 v4, v4, v23
	v_fma_f32 v26, 0xbf5ff5aa, v7, -v26
	v_fma_f32 v12, 0x3f3bfb3b, v15, -v13
	s_delay_alu instid0(VALU_DEP_3) | instskip(NEXT) | instid1(VALU_DEP_3)
	v_dual_fmamk_f32 v13, v16, 0xbf955555, v5 :: v_dual_fmamk_f32 v14, v23, 0xbf955555, v4
	v_fmac_f32_e32 v26, 0xbee1c552, v6
	v_mul_f32_e32 v19, 0x3f4a47b2, v27
	s_delay_alu instid0(VALU_DEP_3) | instskip(SKIP_1) | instid1(VALU_DEP_3)
	v_dual_mul_f32 v27, 0xbf5ff5aa, v7 :: v_dual_add_f32 v12, v12, v13
	v_add_f32_e32 v15, v8, v13
	v_fmamk_f32 v28, v28, 0x3d64c772, v19
	v_fma_f32 v9, 0xbf3bfb3b, v17, -v19
	s_delay_alu instid0(VALU_DEP_4) | instskip(NEXT) | instid1(VALU_DEP_3)
	v_fma_f32 v19, 0x3eae86e6, v30, -v27
	v_add_f32_e32 v23, v28, v14
	s_delay_alu instid0(VALU_DEP_2) | instskip(SKIP_4) | instid1(VALU_DEP_4)
	v_dual_fmac_f32 v19, 0xbee1c552, v6 :: v_dual_add_f32 v6, v25, v13
	v_fma_f32 v7, 0x3f3bfb3b, v17, -v24
	v_add_f32_e32 v24, v9, v14
	v_fmac_f32_e32 v10, 0xbee1c552, v11
	v_add_f32_e32 v16, v31, v23
	v_dual_fmac_f32 v32, 0xbee1c552, v11 :: v_dual_add_f32 v25, v7, v14
	s_delay_alu instid0(VALU_DEP_4) | instskip(NEXT) | instid1(VALU_DEP_4)
	v_dual_add_f32 v14, v19, v24 :: v_dual_fmac_f32 v29, 0xbee1c552, v11
	v_sub_f32_e32 v11, v12, v10
	v_add_f32_e32 v13, v10, v12
	s_delay_alu instid0(VALU_DEP_4) | instskip(NEXT) | instid1(VALU_DEP_4)
	v_dual_add_f32 v10, v26, v25 :: v_dual_add_f32 v9, v32, v15
	v_dual_sub_f32 v17, v6, v29 :: v_dual_sub_f32 v12, v25, v26
	v_dual_sub_f32 v15, v15, v32 :: v_dual_sub_f32 v8, v24, v19
	v_dual_add_f32 v7, v29, v6 :: v_dual_sub_f32 v6, v23, v31
	ds_store_2addr_b64 v18, v[4:5], v[16:17] offset1:8
	ds_store_2addr_b64 v18, v[14:15], v[12:13] offset0:16 offset1:24
	ds_store_2addr_b64 v18, v[10:11], v[8:9] offset0:32 offset1:40
	ds_store_b64 v18, v[6:7] offset:384
.LBB0_17:
	s_wait_alu 0xfffe
	s_or_b32 exec_lo, exec_lo, s1
	v_dual_mov_b32 v5, 0 :: v_dual_lshlrev_b32 v4, 1, v0
	global_wb scope:SCOPE_SE
	s_wait_dscnt 0x0
	s_barrier_signal -1
	s_barrier_wait -1
	global_inv scope:SCOPE_SE
	v_lshlrev_b64_e32 v[6:7], 3, v[4:5]
	s_mov_b32 s1, exec_lo
	s_delay_alu instid0(VALU_DEP_1) | instskip(SKIP_1) | instid1(VALU_DEP_2)
	v_add_co_u32 v6, s0, s4, v6
	s_wait_alu 0xf1ff
	v_add_co_ci_u32_e64 v7, s0, s5, v7, s0
	global_load_b128 v[6:9], v[6:7], off offset:384
	ds_load_2addr_b64 v[10:13], v22 offset0:56 offset1:112
	ds_load_b64 v[14:15], v20
	global_wb scope:SCOPE_SE
	s_wait_loadcnt_dscnt 0x0
	s_barrier_signal -1
	s_barrier_wait -1
	global_inv scope:SCOPE_SE
	v_mul_f32_e32 v4, v7, v11
	v_dual_mul_f32 v16, v9, v13 :: v_dual_mul_f32 v7, v7, v10
	s_delay_alu instid0(VALU_DEP_2) | instskip(NEXT) | instid1(VALU_DEP_2)
	v_dual_mul_f32 v9, v9, v12 :: v_dual_fmac_f32 v4, v6, v10
	v_fma_f32 v6, v6, v11, -v7
	s_delay_alu instid0(VALU_DEP_2) | instskip(NEXT) | instid1(VALU_DEP_4)
	v_fma_f32 v7, v8, v13, -v9
	v_fmac_f32_e32 v16, v8, v12
	s_delay_alu instid0(VALU_DEP_3) | instskip(NEXT) | instid1(VALU_DEP_3)
	v_add_f32_e32 v12, v6, v15
	v_add_f32_e32 v10, v6, v7
	v_sub_f32_e32 v11, v6, v7
	s_delay_alu instid0(VALU_DEP_3) | instskip(NEXT) | instid1(VALU_DEP_3)
	v_add_f32_e32 v7, v12, v7
	v_dual_add_f32 v8, v4, v16 :: v_dual_fmac_f32 v15, -0.5, v10
	v_add_f32_e32 v9, v4, v14
	v_sub_f32_e32 v4, v4, v16
	s_delay_alu instid0(VALU_DEP_3) | instskip(NEXT) | instid1(VALU_DEP_1)
	v_fma_f32 v14, -0.5, v8, v14
	v_fmamk_f32 v8, v11, 0xbf5db3d7, v14
	s_delay_alu instid0(VALU_DEP_3)
	v_dual_add_f32 v6, v9, v16 :: v_dual_fmamk_f32 v9, v4, 0x3f5db3d7, v15
	v_fmac_f32_e32 v14, 0x3f5db3d7, v11
	v_fmac_f32_e32 v15, 0xbf5db3d7, v4
	ds_store_2addr_b64 v22, v[6:7], v[8:9] offset1:56
	ds_store_b64 v22, v[14:15] offset:896
	global_wb scope:SCOPE_SE
	s_wait_dscnt 0x0
	s_barrier_signal -1
	s_barrier_wait -1
	global_inv scope:SCOPE_SE
	ds_load_b64 v[6:7], v20
	v_sub_nc_u32_e32 v4, v1, v21
                                        ; implicit-def: $vgpr9
                                        ; implicit-def: $vgpr8
	v_cmpx_ne_u32_e32 0, v0
	s_wait_alu 0xfffe
	s_xor_b32 s1, exec_lo, s1
	s_cbranch_execz .LBB0_19
; %bb.18:
	ds_load_b64 v[11:12], v4 offset:1344
	v_mov_b32_e32 v1, v5
	s_delay_alu instid0(VALU_DEP_1) | instskip(NEXT) | instid1(VALU_DEP_1)
	v_lshlrev_b64_e32 v[8:9], 3, v[0:1]
	v_add_co_u32 v8, s0, s4, v8
	s_wait_alu 0xf1ff
	s_delay_alu instid0(VALU_DEP_2) | instskip(SKIP_4) | instid1(VALU_DEP_2)
	v_add_co_ci_u32_e64 v9, s0, s5, v9, s0
	global_load_b64 v[9:10], v[8:9], off offset:1280
	s_wait_dscnt 0x0
	v_add_f32_e32 v5, v12, v7
	v_sub_f32_e32 v7, v7, v12
	v_mul_f32_e32 v5, 0.5, v5
	v_sub_f32_e32 v1, v6, v11
	s_delay_alu instid0(VALU_DEP_3) | instskip(NEXT) | instid1(VALU_DEP_2)
	v_dual_mul_f32 v7, 0.5, v7 :: v_dual_add_f32 v6, v11, v6
	v_mul_f32_e32 v1, 0.5, v1
	s_wait_loadcnt 0x0
	s_delay_alu instid0(VALU_DEP_1) | instskip(NEXT) | instid1(VALU_DEP_3)
	v_mul_f32_e32 v11, v10, v1
	v_fma_f32 v12, v5, v10, v7
	v_fma_f32 v7, v5, v10, -v7
	s_delay_alu instid0(VALU_DEP_3) | instskip(SKIP_1) | instid1(VALU_DEP_4)
	v_fma_f32 v8, 0.5, v6, v11
	v_fma_f32 v6, v6, 0.5, -v11
	v_fma_f32 v10, -v9, v1, v12
	s_delay_alu instid0(VALU_DEP_4)
	v_fma_f32 v1, -v9, v1, v7
	ds_store_b32 v20, v10 offset:4
	ds_store_b32 v4, v1 offset:1348
	v_fmac_f32_e32 v8, v9, v5
	v_fma_f32 v9, -v9, v5, v6
                                        ; implicit-def: $vgpr6_vgpr7
                                        ; implicit-def: $vgpr1
.LBB0_19:
	s_wait_alu 0xfffe
	s_and_not1_saveexec_b32 s0, s1
	s_cbranch_execz .LBB0_21
; %bb.20:
	s_wait_dscnt 0x0
	v_dual_mov_b32 v5, 0 :: v_dual_add_f32 v8, v6, v7
	v_sub_f32_e32 v9, v6, v7
	ds_store_b32 v20, v5 offset:4
	ds_store_b32 v4, v5 offset:1348
	ds_load_b32 v5, v1 offset:676
	s_wait_dscnt 0x0
	v_xor_b32_e32 v5, 0x80000000, v5
	ds_store_b32 v1, v5 offset:676
.LBB0_21:
	s_wait_alu 0xfffe
	s_or_b32 exec_lo, exec_lo, s0
	s_delay_alu instid0(SALU_CYCLE_1)
	s_mov_b32 s1, exec_lo
	ds_store_b32 v20, v8
	ds_store_b32 v4, v9 offset:1344
	v_cmpx_gt_u32_e32 28, v0
	s_cbranch_execz .LBB0_23
; %bb.22:
	v_mov_b32_e32 v1, 0
	s_add_nc_u64 s[2:3], s[4:5], 0x500
	s_wait_dscnt 0x2
	s_delay_alu instid0(VALU_DEP_1) | instskip(SKIP_1) | instid1(VALU_DEP_1)
	v_lshlrev_b64_e32 v[5:6], 3, v[0:1]
	s_wait_alu 0xfffe
	v_add_co_u32 v5, s0, s2, v5
	s_wait_alu 0xf1ff
	s_delay_alu instid0(VALU_DEP_2)
	v_add_co_ci_u32_e64 v6, s0, s3, v6, s0
	global_load_b64 v[5:6], v[5:6], off offset:448
	ds_load_b64 v[7:8], v20 offset:448
	ds_load_b64 v[9:10], v4 offset:896
	s_wait_dscnt 0x0
	v_add_f32_e32 v11, v8, v10
	v_sub_f32_e32 v8, v8, v10
	s_delay_alu instid0(VALU_DEP_1) | instskip(NEXT) | instid1(VALU_DEP_3)
	v_dual_mul_f32 v8, 0.5, v8 :: v_dual_sub_f32 v1, v7, v9
	v_dual_mul_f32 v10, 0.5, v11 :: v_dual_add_f32 v7, v7, v9
	s_delay_alu instid0(VALU_DEP_2) | instskip(SKIP_1) | instid1(VALU_DEP_1)
	v_mul_f32_e32 v1, 0.5, v1
	s_wait_loadcnt 0x0
	v_mul_f32_e32 v9, v6, v1
	s_delay_alu instid0(VALU_DEP_3) | instskip(SKIP_1) | instid1(VALU_DEP_3)
	v_fma_f32 v11, v10, v6, v8
	v_fma_f32 v8, v10, v6, -v8
	v_fma_f32 v6, 0.5, v7, v9
	v_fma_f32 v12, v7, 0.5, -v9
	s_delay_alu instid0(VALU_DEP_2) | instskip(SKIP_2) | instid1(VALU_DEP_4)
	v_fmac_f32_e32 v6, v5, v10
	v_fma_f32 v7, -v5, v1, v11
	v_fma_f32 v9, -v5, v1, v8
	;; [unrolled: 1-line block ×3, first 2 shown]
	ds_store_b64 v20, v[6:7] offset:448
	ds_store_b64 v4, v[8:9] offset:896
.LBB0_23:
	s_wait_alu 0xfffe
	s_or_b32 exec_lo, exec_lo, s1
	global_wb scope:SCOPE_SE
	s_wait_dscnt 0x0
	s_barrier_signal -1
	s_barrier_wait -1
	global_inv scope:SCOPE_SE
	s_and_saveexec_b32 s0, vcc_lo
	s_cbranch_execz .LBB0_26
; %bb.24:
	ds_load_2addr_b64 v[4:7], v20 offset1:56
	v_mov_b32_e32 v1, 0
	ds_load_b64 v[8:9], v20 offset:896
	v_lshlrev_b64_e32 v[10:11], 3, v[0:1]
	v_add_co_u32 v1, vcc_lo, s8, v2
	s_wait_alu 0xfffd
	v_add_co_ci_u32_e32 v2, vcc_lo, s9, v3, vcc_lo
	s_delay_alu instid0(VALU_DEP_2) | instskip(SKIP_1) | instid1(VALU_DEP_2)
	v_add_co_u32 v10, vcc_lo, v1, v10
	s_wait_alu 0xfffd
	v_add_co_ci_u32_e32 v11, vcc_lo, v2, v11, vcc_lo
	v_cmp_eq_u32_e32 vcc_lo, 55, v0
	s_wait_dscnt 0x1
	s_clause 0x1
	global_store_b64 v[10:11], v[4:5], off
	global_store_b64 v[10:11], v[6:7], off offset:448
	s_wait_dscnt 0x0
	global_store_b64 v[10:11], v[8:9], off offset:896
	s_and_b32 exec_lo, exec_lo, vcc_lo
	s_cbranch_execz .LBB0_26
; %bb.25:
	ds_load_b64 v[3:4], v20 offset:904
	s_wait_dscnt 0x0
	global_store_b64 v[1:2], v[3:4], off offset:1344
.LBB0_26:
	s_nop 0
	s_sendmsg sendmsg(MSG_DEALLOC_VGPRS)
	s_endpgm
	.section	.rodata,"a",@progbits
	.p2align	6, 0x0
	.amdhsa_kernel fft_rtc_back_len168_factors_8_7_3_wgs_224_tpt_56_sp_ip_CI_unitstride_sbrr_R2C_dirReg
		.amdhsa_group_segment_fixed_size 0
		.amdhsa_private_segment_fixed_size 0
		.amdhsa_kernarg_size 88
		.amdhsa_user_sgpr_count 2
		.amdhsa_user_sgpr_dispatch_ptr 0
		.amdhsa_user_sgpr_queue_ptr 0
		.amdhsa_user_sgpr_kernarg_segment_ptr 1
		.amdhsa_user_sgpr_dispatch_id 0
		.amdhsa_user_sgpr_private_segment_size 0
		.amdhsa_wavefront_size32 1
		.amdhsa_uses_dynamic_stack 0
		.amdhsa_enable_private_segment 0
		.amdhsa_system_sgpr_workgroup_id_x 1
		.amdhsa_system_sgpr_workgroup_id_y 0
		.amdhsa_system_sgpr_workgroup_id_z 0
		.amdhsa_system_sgpr_workgroup_info 0
		.amdhsa_system_vgpr_workitem_id 0
		.amdhsa_next_free_vgpr 40
		.amdhsa_next_free_sgpr 32
		.amdhsa_reserve_vcc 1
		.amdhsa_float_round_mode_32 0
		.amdhsa_float_round_mode_16_64 0
		.amdhsa_float_denorm_mode_32 3
		.amdhsa_float_denorm_mode_16_64 3
		.amdhsa_fp16_overflow 0
		.amdhsa_workgroup_processor_mode 1
		.amdhsa_memory_ordered 1
		.amdhsa_forward_progress 0
		.amdhsa_round_robin_scheduling 0
		.amdhsa_exception_fp_ieee_invalid_op 0
		.amdhsa_exception_fp_denorm_src 0
		.amdhsa_exception_fp_ieee_div_zero 0
		.amdhsa_exception_fp_ieee_overflow 0
		.amdhsa_exception_fp_ieee_underflow 0
		.amdhsa_exception_fp_ieee_inexact 0
		.amdhsa_exception_int_div_zero 0
	.end_amdhsa_kernel
	.text
.Lfunc_end0:
	.size	fft_rtc_back_len168_factors_8_7_3_wgs_224_tpt_56_sp_ip_CI_unitstride_sbrr_R2C_dirReg, .Lfunc_end0-fft_rtc_back_len168_factors_8_7_3_wgs_224_tpt_56_sp_ip_CI_unitstride_sbrr_R2C_dirReg
                                        ; -- End function
	.section	.AMDGPU.csdata,"",@progbits
; Kernel info:
; codeLenInByte = 4044
; NumSgprs: 34
; NumVgprs: 40
; ScratchSize: 0
; MemoryBound: 0
; FloatMode: 240
; IeeeMode: 1
; LDSByteSize: 0 bytes/workgroup (compile time only)
; SGPRBlocks: 4
; VGPRBlocks: 4
; NumSGPRsForWavesPerEU: 34
; NumVGPRsForWavesPerEU: 40
; Occupancy: 16
; WaveLimiterHint : 1
; COMPUTE_PGM_RSRC2:SCRATCH_EN: 0
; COMPUTE_PGM_RSRC2:USER_SGPR: 2
; COMPUTE_PGM_RSRC2:TRAP_HANDLER: 0
; COMPUTE_PGM_RSRC2:TGID_X_EN: 1
; COMPUTE_PGM_RSRC2:TGID_Y_EN: 0
; COMPUTE_PGM_RSRC2:TGID_Z_EN: 0
; COMPUTE_PGM_RSRC2:TIDIG_COMP_CNT: 0
	.text
	.p2alignl 7, 3214868480
	.fill 96, 4, 3214868480
	.type	__hip_cuid_549a6abf8de11880,@object ; @__hip_cuid_549a6abf8de11880
	.section	.bss,"aw",@nobits
	.globl	__hip_cuid_549a6abf8de11880
__hip_cuid_549a6abf8de11880:
	.byte	0                               ; 0x0
	.size	__hip_cuid_549a6abf8de11880, 1

	.ident	"AMD clang version 19.0.0git (https://github.com/RadeonOpenCompute/llvm-project roc-6.4.0 25133 c7fe45cf4b819c5991fe208aaa96edf142730f1d)"
	.section	".note.GNU-stack","",@progbits
	.addrsig
	.addrsig_sym __hip_cuid_549a6abf8de11880
	.amdgpu_metadata
---
amdhsa.kernels:
  - .args:
      - .actual_access:  read_only
        .address_space:  global
        .offset:         0
        .size:           8
        .value_kind:     global_buffer
      - .offset:         8
        .size:           8
        .value_kind:     by_value
      - .actual_access:  read_only
        .address_space:  global
        .offset:         16
        .size:           8
        .value_kind:     global_buffer
      - .actual_access:  read_only
        .address_space:  global
        .offset:         24
        .size:           8
        .value_kind:     global_buffer
      - .offset:         32
        .size:           8
        .value_kind:     by_value
      - .actual_access:  read_only
        .address_space:  global
        .offset:         40
        .size:           8
        .value_kind:     global_buffer
      - .actual_access:  read_only
        .address_space:  global
        .offset:         48
        .size:           8
        .value_kind:     global_buffer
      - .offset:         56
        .size:           4
        .value_kind:     by_value
      - .actual_access:  read_only
        .address_space:  global
        .offset:         64
        .size:           8
        .value_kind:     global_buffer
      - .actual_access:  read_only
        .address_space:  global
        .offset:         72
        .size:           8
        .value_kind:     global_buffer
      - .address_space:  global
        .offset:         80
        .size:           8
        .value_kind:     global_buffer
    .group_segment_fixed_size: 0
    .kernarg_segment_align: 8
    .kernarg_segment_size: 88
    .language:       OpenCL C
    .language_version:
      - 2
      - 0
    .max_flat_workgroup_size: 224
    .name:           fft_rtc_back_len168_factors_8_7_3_wgs_224_tpt_56_sp_ip_CI_unitstride_sbrr_R2C_dirReg
    .private_segment_fixed_size: 0
    .sgpr_count:     34
    .sgpr_spill_count: 0
    .symbol:         fft_rtc_back_len168_factors_8_7_3_wgs_224_tpt_56_sp_ip_CI_unitstride_sbrr_R2C_dirReg.kd
    .uniform_work_group_size: 1
    .uses_dynamic_stack: false
    .vgpr_count:     40
    .vgpr_spill_count: 0
    .wavefront_size: 32
    .workgroup_processor_mode: 1
amdhsa.target:   amdgcn-amd-amdhsa--gfx1201
amdhsa.version:
  - 1
  - 2
...

	.end_amdgpu_metadata
